;; amdgpu-corpus repo=ROCm/rocFFT kind=compiled arch=gfx1030 opt=O3
	.text
	.amdgcn_target "amdgcn-amd-amdhsa--gfx1030"
	.amdhsa_code_object_version 6
	.protected	fft_rtc_back_len168_factors_2_7_6_2_wgs_168_tpt_14_halfLds_dim2_dp_op_CI_CI_sbcc_twdbase5_3step_dirReg_intrinsicReadWrite ; -- Begin function fft_rtc_back_len168_factors_2_7_6_2_wgs_168_tpt_14_halfLds_dim2_dp_op_CI_CI_sbcc_twdbase5_3step_dirReg_intrinsicReadWrite
	.globl	fft_rtc_back_len168_factors_2_7_6_2_wgs_168_tpt_14_halfLds_dim2_dp_op_CI_CI_sbcc_twdbase5_3step_dirReg_intrinsicReadWrite
	.p2align	8
	.type	fft_rtc_back_len168_factors_2_7_6_2_wgs_168_tpt_14_halfLds_dim2_dp_op_CI_CI_sbcc_twdbase5_3step_dirReg_intrinsicReadWrite,@function
fft_rtc_back_len168_factors_2_7_6_2_wgs_168_tpt_14_halfLds_dim2_dp_op_CI_CI_sbcc_twdbase5_3step_dirReg_intrinsicReadWrite: ; @fft_rtc_back_len168_factors_2_7_6_2_wgs_168_tpt_14_halfLds_dim2_dp_op_CI_CI_sbcc_twdbase5_3step_dirReg_intrinsicReadWrite
; %bb.0:
	s_clause 0x2
	s_load_dwordx2 s[0:1], s[4:5], 0x58
	s_load_dwordx4 s[8:11], s[4:5], 0x10
	s_load_dwordx2 s[14:15], s[4:5], 0x20
	s_mov_b32 s2, exec_lo
	v_cmpx_gt_u32_e32 0x60, v0
	s_cbranch_execz .LBB0_2
; %bb.1:
	s_load_dwordx2 s[12:13], s[4:5], 0x8
	v_lshlrev_b32_e32 v5, 4, v0
	s_waitcnt lgkmcnt(0)
	global_load_dwordx4 v[1:4], v5, s[12:13]
	v_add3_u32 v5, 0, v5, 0x3f00
	s_waitcnt vmcnt(0)
	ds_write2_b64 v5, v[1:2], v[3:4] offset1:1
.LBB0_2:
	s_or_b32 exec_lo, exec_lo, s2
	s_waitcnt lgkmcnt(0)
	s_load_dwordx2 s[2:3], s[8:9], 0x8
	s_waitcnt lgkmcnt(0)
	s_add_u32 s7, s2, -1
	s_addc_u32 s8, s3, -1
	s_add_u32 s9, 0, 0x55540000
	s_addc_u32 s12, 0, 0x55
	s_mul_hi_u32 s16, s9, -12
	s_add_i32 s12, s12, 0x15555500
	s_sub_i32 s16, s16, s9
	s_mul_i32 s18, s12, -12
	s_mul_i32 s13, s9, -12
	s_add_i32 s16, s16, s18
	s_mul_hi_u32 s17, s9, s13
	s_mul_i32 s20, s9, s16
	s_mul_hi_u32 s18, s9, s16
	s_mul_hi_u32 s19, s12, s13
	s_mul_i32 s13, s12, s13
	s_add_u32 s17, s17, s20
	s_addc_u32 s18, 0, s18
	s_mul_hi_u32 s21, s12, s16
	s_add_u32 s13, s17, s13
	s_mul_i32 s16, s12, s16
	s_addc_u32 s13, s18, s19
	s_addc_u32 s17, s21, 0
	s_add_u32 s13, s13, s16
	v_add_co_u32 v1, s9, s9, s13
	s_addc_u32 s13, 0, s17
	s_cmp_lg_u32 s9, 0
	s_addc_u32 s9, s12, s13
	v_readfirstlane_b32 s12, v1
	s_mul_i32 s16, s7, s9
	s_mul_hi_u32 s13, s7, s9
	s_mul_hi_u32 s17, s8, s9
	s_mul_i32 s9, s8, s9
	s_mul_hi_u32 s18, s7, s12
	s_mul_hi_u32 s19, s8, s12
	s_mul_i32 s12, s8, s12
	s_add_u32 s16, s18, s16
	s_addc_u32 s13, 0, s13
	s_add_u32 s12, s16, s12
	s_addc_u32 s12, s13, s19
	s_addc_u32 s13, s17, 0
	s_add_u32 s9, s12, s9
	s_addc_u32 s12, 0, s13
	s_mul_i32 s16, s9, 12
	s_add_u32 s13, s9, 1
	v_sub_co_u32 v1, s7, s7, s16
	s_mul_hi_u32 s16, s9, 12
	s_addc_u32 s17, s12, 0
	s_mul_i32 s18, s12, 12
	v_sub_co_u32 v2, s19, v1, 12
	s_add_u32 s20, s9, 2
	s_addc_u32 s21, s12, 0
	s_add_i32 s16, s16, s18
	s_cmp_lg_u32 s7, 0
	v_readfirstlane_b32 s7, v2
	s_subb_u32 s8, s8, s16
	s_cmp_lg_u32 s19, 0
	s_subb_u32 s16, s8, 0
	s_cmp_gt_u32 s7, 11
	s_cselect_b32 s7, -1, 0
	s_cmp_eq_u32 s16, 0
	v_readfirstlane_b32 s16, v1
	s_cselect_b32 s7, s7, -1
	s_cmp_lg_u32 s7, 0
	s_cselect_b32 s13, s20, s13
	s_cselect_b32 s18, s21, s17
	s_cmp_gt_u32 s16, 11
	s_load_dwordx2 s[16:17], s[10:11], 0x0
	s_cselect_b32 s7, -1, 0
	s_cmp_eq_u32 s8, 0
	s_cselect_b32 s7, s7, -1
	s_cmp_lg_u32 s7, 0
	s_mov_b32 s7, 0
	s_cselect_b32 s8, s13, s9
	s_cselect_b32 s9, s18, s12
	s_add_u32 s18, s8, 1
	s_addc_u32 s19, s9, 0
	s_mov_b64 s[12:13], 0
	v_cmp_lt_u64_e64 s7, s[6:7], s[18:19]
	s_and_b32 vcc_lo, exec_lo, s7
	s_cbranch_vccnz .LBB0_4
; %bb.3:
	v_cvt_f32_u32_e32 v1, s18
	s_sub_i32 s8, 0, s18
	v_rcp_iflag_f32_e32 v1, v1
	v_mul_f32_e32 v1, 0x4f7ffffe, v1
	v_cvt_u32_f32_e32 v1, v1
	v_readfirstlane_b32 s7, v1
	s_mul_i32 s8, s8, s7
	s_mul_hi_u32 s8, s7, s8
	s_add_i32 s7, s7, s8
	s_mul_hi_u32 s7, s6, s7
	s_mul_i32 s8, s7, s18
	s_add_i32 s9, s7, 1
	s_sub_i32 s8, s6, s8
	s_sub_i32 s12, s8, s18
	s_cmp_ge_u32 s8, s18
	s_cselect_b32 s7, s9, s7
	s_cselect_b32 s8, s12, s8
	s_add_i32 s9, s7, 1
	s_cmp_ge_u32 s8, s18
	s_cselect_b32 s12, s9, s7
.LBB0_4:
	v_mul_u32_u24_e32 v1, 0x1556, v0
	s_load_dwordx4 s[8:11], s[10:11], 0x8
	s_mul_i32 s7, s12, s19
	s_waitcnt lgkmcnt(0)
	s_mul_hi_u32 s9, s12, s18
	s_mul_i32 s11, s12, s18
	v_lshrrev_b32_e32 v70, 16, v1
	s_add_i32 s9, s9, s7
	s_sub_u32 s6, s6, s11
	s_subb_u32 s7, 0, s9
	s_mul_hi_u32 s9, s6, 12
	v_mul_lo_u16 v1, v70, 12
	s_mul_i32 s13, s6, 12
	s_mul_i32 s7, s7, 12
	v_add_nc_u32_e32 v2, 0x54, v70
	s_add_i32 s9, s9, s7
	v_sub_nc_u16 v1, v0, v1
	v_add_nc_u32_e32 v66, 14, v70
	v_add_nc_u32_e32 v68, 28, v70
	;; [unrolled: 1-line block ×3, first 2 shown]
	v_mul_lo_u32 v3, s16, v70
	v_and_b32_e32 v69, 0xffff, v1
	s_mul_i32 s6, s13, s8
	s_mul_i32 s7, s10, s12
	v_mul_lo_u32 v1, s16, v2
	s_add_i32 s10, s7, s6
	v_add_co_u32 v49, s6, s13, v69
	v_mul_lo_u32 v25, s8, v69
	v_add_co_ci_u32_e64 v50, null, s9, 0, s6
	s_add_u32 s6, s13, 12
	s_addc_u32 s7, s9, 0
	v_add_nc_u32_e32 v2, 0x62, v70
	v_cmp_le_u64_e64 s6, s[6:7], s[2:3]
	v_cmp_gt_u64_e32 vcc_lo, s[2:3], v[49:50]
	v_add_lshl_u32 v1, v25, v1, 4
	v_add_nc_u32_e32 v65, 42, v70
	v_mul_lo_u32 v4, s16, v66
	v_mul_lo_u32 v2, s16, v2
	;; [unrolled: 1-line block ×3, first 2 shown]
	s_or_b32 vcc_lo, s6, vcc_lo
	v_add_nc_u32_e32 v64, 56, v70
	v_cndmask_b32_e32 v5, -1, v1, vcc_lo
	v_add_nc_u32_e32 v1, 0x70, v70
	v_mul_lo_u32 v26, s16, v19
	v_add_nc_u32_e32 v67, 0x46, v70
	v_add_nc_u32_e32 v19, 0x9a, v70
	v_mul_lo_u32 v20, s16, v65
	v_mul_lo_u32 v12, s16, v1
	;; [unrolled: 1-line block ×3, first 2 shown]
	v_add_lshl_u32 v3, v25, v3, 4
	v_add_lshl_u32 v9, v25, v4, 4
	v_mul_lo_u32 v30, s16, v67
	v_mul_lo_u32 v31, s16, v19
	v_add_lshl_u32 v11, v25, v2, 4
	v_add_lshl_u32 v17, v25, v10, 4
	;; [unrolled: 1-line block ×3, first 2 shown]
	v_cndmask_b32_e32 v3, -1, v3, vcc_lo
	v_add_lshl_u32 v27, v25, v20, 4
	v_cndmask_b32_e32 v9, -1, v9, vcc_lo
	v_add_lshl_u32 v26, v25, v26, 4
	v_cndmask_b32_e32 v21, -1, v18, vcc_lo
	v_add_nc_u32_e32 v18, 0x8c, v70
	v_cndmask_b32_e32 v13, -1, v11, vcc_lo
	v_cndmask_b32_e32 v17, -1, v17, vcc_lo
	v_add_lshl_u32 v28, v25, v28, 4
	s_mov_b32 s3, 0x31014000
	v_mul_lo_u32 v29, s16, v18
	s_mov_b32 s2, -2
	s_lshl_b32 s6, s10, 4
	v_add_lshl_u32 v30, v25, v30, 4
	s_clause 0x1
	buffer_load_dwordx4 v[1:4], v3, s[0:3], s6 offen
	buffer_load_dwordx4 v[5:8], v5, s[0:3], s6 offen
	v_cndmask_b32_e32 v27, -1, v27, vcc_lo
	s_clause 0x3
	buffer_load_dwordx4 v[9:12], v9, s[0:3], s6 offen
	buffer_load_dwordx4 v[13:16], v13, s[0:3], s6 offen
	;; [unrolled: 1-line block ×4, first 2 shown]
	v_add_lshl_u32 v29, v25, v29, 4
	v_add_lshl_u32 v25, v25, v31, 4
	v_cndmask_b32_e32 v31, -1, v26, vcc_lo
	v_cndmask_b32_e32 v32, -1, v28, vcc_lo
	;; [unrolled: 1-line block ×5, first 2 shown]
	s_clause 0x5
	buffer_load_dwordx4 v[25:28], v27, s[0:3], s6 offen
	buffer_load_dwordx4 v[37:40], v31, s[0:3], s6 offen
	;; [unrolled: 1-line block ×6, first 2 shown]
	v_lshlrev_b32_e32 v72, 3, v69
	s_load_dwordx2 s[6:7], s[4:5], 0x0
	s_clause 0x1
	s_load_dwordx2 s[2:3], s[14:15], 0x0
	s_load_dwordx4 s[8:11], s[14:15], 0x8
	v_cmp_gt_u32_e64 s0, 0x78, v0
                                        ; implicit-def: $vgpr58_vgpr59
	s_waitcnt vmcnt(10)
	v_add_f64 v[52:53], v[1:2], -v[5:6]
	s_waitcnt vmcnt(8)
	v_add_f64 v[13:14], v[9:10], -v[13:14]
	;; [unrolled: 2-line block ×6, first 2 shown]
	v_fma_f64 v[37:38], v[1:2], 2.0, -v[52:53]
	v_mad_u32_u24 v1, 0xc0, v70, 0
	v_fma_f64 v[9:10], v[9:10], 2.0, -v[13:14]
	v_fma_f64 v[41:42], v[17:18], 2.0, -v[54:55]
	v_mad_i32_i24 v2, 0xffffffa0, v70, v1
	v_fma_f64 v[25:26], v[25:26], 2.0, -v[5:6]
	v_add_nc_u32_e32 v1, v1, v72
	v_fma_f64 v[17:18], v[29:30], 2.0, -v[21:22]
	v_fma_f64 v[45:46], v[33:34], 2.0, -v[50:51]
	v_add_nc_u32_e32 v71, v2, v72
	v_add_nc_u32_e32 v29, 0x800, v1
	;; [unrolled: 1-line block ×6, first 2 shown]
	v_lshl_add_u32 v73, v69, 3, v2
	v_add_nc_u32_e32 v2, 0xa80, v1
	v_add_nc_u32_e32 v57, 0x3480, v1
	ds_write2_b64 v1, v[37:38], v[52:53] offset1:12
	ds_write2_b64 v29, v[9:10], v[13:14] offset0:80 offset1:92
	ds_write2_b64 v30, v[41:42], v[54:55] offset0:160 offset1:172
	;; [unrolled: 1-line block ×5, first 2 shown]
	s_waitcnt lgkmcnt(0)
	s_barrier
	buffer_gl0_inv
	ds_read_b64 v[9:10], v71
	ds_read_b64 v[62:63], v71 offset:2304
	ds_read_b64 v[25:26], v71 offset:4608
	;; [unrolled: 1-line block ×6, first 2 shown]
	v_add_nc_u32_e32 v54, 0x1500, v1
	v_add_nc_u32_e32 v55, 0x1f80, v1
	;; [unrolled: 1-line block ×3, first 2 shown]
                                        ; kill: def $vgpr13_vgpr14 killed $sgpr0_sgpr1 killed $exec
                                        ; implicit-def: $vgpr41_vgpr42
	s_and_saveexec_b32 s1, s0
	s_cbranch_execz .LBB0_6
; %bb.5:
	ds_read_b64 v[17:18], v71 offset:3648
	ds_read_b64 v[21:22], v71 offset:5952
	;; [unrolled: 1-line block ×7, first 2 shown]
.LBB0_6:
	s_or_b32 exec_lo, exec_lo, s1
	v_add_f64 v[7:8], v[3:4], -v[7:8]
	v_add_f64 v[15:16], v[11:12], -v[15:16]
	;; [unrolled: 1-line block ×6, first 2 shown]
	s_waitcnt lgkmcnt(0)
	s_barrier
	buffer_gl0_inv
	v_fma_f64 v[3:4], v[3:4], 2.0, -v[7:8]
	v_fma_f64 v[39:40], v[11:12], 2.0, -v[15:16]
	;; [unrolled: 1-line block ×6, first 2 shown]
	ds_write2_b64 v1, v[3:4], v[7:8] offset1:12
	ds_write2_b64 v2, v[39:40], v[15:16] offset1:12
	;; [unrolled: 1-line block ×6, first 2 shown]
	s_waitcnt lgkmcnt(0)
	s_barrier
	buffer_gl0_inv
	ds_read_b64 v[1:2], v71
	ds_read_b64 v[7:8], v71 offset:2304
	ds_read_b64 v[19:20], v71 offset:4608
	;; [unrolled: 1-line block ×6, first 2 shown]
                                        ; implicit-def: $vgpr56_vgpr57
                                        ; implicit-def: $vgpr39_vgpr40
	s_and_saveexec_b32 s1, s0
	s_cbranch_execz .LBB0_8
; %bb.7:
	ds_read_b64 v[11:12], v71 offset:3648
	ds_read_b64 v[23:24], v71 offset:5952
	;; [unrolled: 1-line block ×7, first 2 shown]
.LBB0_8:
	s_or_b32 exec_lo, exec_lo, s1
	v_and_b32_e32 v73, 1, v70
	s_mov_b32 s20, 0xe976ee23
	s_mov_b32 s14, 0x429ad128
	;; [unrolled: 1-line block ×4, first 2 shown]
	v_mul_u32_u24_e32 v3, 6, v73
	s_mov_b32 s18, 0xb247c609
	s_mov_b32 s30, 0x37e14327
	;; [unrolled: 1-line block ×4, first 2 shown]
	v_lshlrev_b32_e32 v86, 4, v3
	s_mov_b32 s17, 0x3fd5d0dc
	s_mov_b32 s16, s18
	;; [unrolled: 1-line block ×4, first 2 shown]
	s_clause 0x2
	global_load_dwordx4 v[74:77], v86, s[6:7]
	global_load_dwordx4 v[78:81], v86, s[6:7] offset:16
	global_load_dwordx4 v[82:85], v86, s[6:7] offset:32
	s_mov_b32 s22, 0x5476071b
	s_mov_b32 s34, 0xaaaaaaaa
	;; [unrolled: 1-line block ×8, first 2 shown]
	s_load_dwordx2 s[4:5], s[4:5], 0x60
	s_waitcnt vmcnt(2)
	v_mul_f64 v[15:16], v[62:63], v[76:77]
	s_waitcnt lgkmcnt(0)
	v_mul_f64 v[3:4], v[7:8], v[76:77]
	s_waitcnt vmcnt(1)
	v_mul_f64 v[43:44], v[25:26], v[80:81]
	v_fma_f64 v[7:8], v[7:8], v[74:75], -v[15:16]
	v_mul_f64 v[15:16], v[11:12], v[76:77]
	v_fma_f64 v[3:4], v[62:63], v[74:75], v[3:4]
	s_waitcnt vmcnt(0)
	v_mul_f64 v[62:63], v[27:28], v[84:85]
	v_fma_f64 v[15:16], v[17:18], v[74:75], v[15:16]
	v_mul_f64 v[17:18], v[17:18], v[76:77]
	v_fma_f64 v[17:18], v[11:12], v[74:75], -v[17:18]
	v_mul_f64 v[11:12], v[19:20], v[80:81]
	global_load_dwordx4 v[74:77], v86, s[6:7] offset:48
	v_fma_f64 v[11:12], v[25:26], v[78:79], v[11:12]
	v_fma_f64 v[25:26], v[19:20], v[78:79], -v[43:44]
	v_mul_f64 v[19:20], v[23:24], v[80:81]
	v_mul_f64 v[43:44], v[29:30], v[84:85]
	v_fma_f64 v[19:20], v[21:22], v[78:79], v[19:20]
	v_mul_f64 v[21:22], v[21:22], v[80:81]
	v_fma_f64 v[21:22], v[23:24], v[78:79], -v[21:22]
	global_load_dwordx4 v[78:81], v86, s[6:7] offset:64
	v_mul_f64 v[23:24], v[31:32], v[84:85]
	v_mul_f64 v[84:85], v[45:46], v[84:85]
	v_fma_f64 v[31:32], v[31:32], v[82:83], -v[43:44]
	v_fma_f64 v[29:30], v[29:30], v[82:83], v[23:24]
	v_fma_f64 v[23:24], v[45:46], v[82:83], v[62:63]
	v_fma_f64 v[27:28], v[27:28], v[82:83], -v[84:85]
	global_load_dwordx4 v[82:85], v86, s[6:7] offset:80
	s_waitcnt vmcnt(0)
	s_barrier
	buffer_gl0_inv
	v_mul_f64 v[43:44], v[35:36], v[76:77]
	v_fma_f64 v[43:44], v[33:34], v[74:75], v[43:44]
	v_mul_f64 v[33:34], v[33:34], v[76:77]
	v_fma_f64 v[45:46], v[35:36], v[74:75], -v[33:34]
	v_mul_f64 v[33:34], v[47:48], v[76:77]
	v_mul_f64 v[35:36], v[50:51], v[76:77]
	v_fma_f64 v[33:34], v[50:51], v[74:75], v[33:34]
	v_fma_f64 v[35:36], v[47:48], v[74:75], -v[35:36]
	v_mul_f64 v[47:48], v[60:61], v[80:81]
	v_mul_f64 v[50:51], v[52:53], v[80:81]
	;; [unrolled: 1-line block ×3, first 2 shown]
	v_fma_f64 v[47:48], v[52:53], v[78:79], v[47:48]
	v_fma_f64 v[52:53], v[60:61], v[78:79], -v[50:51]
	v_mul_f64 v[60:61], v[58:59], v[80:81]
	v_mul_f64 v[62:63], v[54:55], v[84:85]
	v_add_f64 v[76:77], v[11:12], v[47:48]
	v_fma_f64 v[39:40], v[39:40], v[78:79], -v[60:61]
	v_fma_f64 v[50:51], v[37:38], v[82:83], v[62:63]
	v_mul_f64 v[62:63], v[37:38], v[84:85]
	v_fma_f64 v[37:38], v[58:59], v[78:79], v[74:75]
	v_mul_f64 v[74:75], v[56:57], v[84:85]
	v_mul_f64 v[78:79], v[41:42], v[84:85]
	v_add_f64 v[60:61], v[3:4], v[50:51]
	v_fma_f64 v[58:59], v[54:55], v[82:83], -v[62:63]
	v_add_f64 v[62:63], v[29:30], v[43:44]
	v_fma_f64 v[41:42], v[41:42], v[82:83], v[74:75]
	v_fma_f64 v[54:55], v[56:57], v[82:83], -v[78:79]
	v_add_f64 v[56:57], v[25:26], -v[52:53]
	v_add_f64 v[78:79], v[45:46], -v[31:32]
	v_add_f64 v[74:75], v[76:77], v[60:61]
	v_add_f64 v[80:81], v[76:77], -v[60:61]
	v_add_f64 v[60:61], v[60:61], -v[62:63]
	v_add_f64 v[76:77], v[62:63], -v[76:77]
	v_add_f64 v[82:83], v[78:79], v[56:57]
	v_add_f64 v[84:85], v[78:79], -v[56:57]
	v_add_f64 v[62:63], v[62:63], v[74:75]
	v_add_f64 v[74:75], v[7:8], -v[58:59]
	v_mul_f64 v[60:61], v[60:61], s[30:31]
	v_add_f64 v[9:10], v[9:10], v[62:63]
	v_add_f64 v[56:57], v[56:57], -v[74:75]
	v_add_f64 v[78:79], v[74:75], -v[78:79]
	v_add_f64 v[74:75], v[82:83], v[74:75]
	v_mul_f64 v[82:83], v[84:85], s[20:21]
	v_fma_f64 v[62:63], v[62:63], s[34:35], v[9:10]
	v_mul_f64 v[84:85], v[56:57], s[14:15]
	v_fma_f64 v[56:57], v[56:57], s[14:15], -v[82:83]
	v_fma_f64 v[82:83], v[78:79], s[18:19], v[82:83]
	v_fma_f64 v[78:79], v[78:79], s[16:17], -v[84:85]
	v_mul_f64 v[84:85], v[76:77], s[26:27]
	v_fma_f64 v[56:57], v[74:75], s[28:29], v[56:57]
	v_fma_f64 v[84:85], v[80:81], s[22:23], -v[84:85]
	v_fma_f64 v[80:81], v[80:81], s[24:25], -v[60:61]
	v_fma_f64 v[60:61], v[76:77], s[26:27], v[60:61]
	v_fma_f64 v[76:77], v[74:75], s[28:29], v[78:79]
	;; [unrolled: 1-line block ×3, first 2 shown]
	v_add_f64 v[78:79], v[84:85], v[62:63]
	v_add_f64 v[80:81], v[80:81], v[62:63]
	;; [unrolled: 1-line block ×3, first 2 shown]
	v_lshrrev_b32_e32 v84, 1, v70
	v_add_f64 v[62:63], v[78:79], -v[56:57]
	v_add_f64 v[82:83], v[76:77], v[80:81]
	v_add_f64 v[76:77], v[80:81], -v[76:77]
	v_add_f64 v[80:81], v[74:75], v[60:61]
	v_add_f64 v[78:79], v[56:57], v[78:79]
	v_mul_u32_u24_e32 v56, 14, v84
	v_add_f64 v[60:61], v[60:61], -v[74:75]
	v_or_b32_e32 v56, v56, v73
	v_mul_u32_u24_e32 v56, 0x60, v56
	v_add3_u32 v57, 0, v56, v72
	v_lshrrev_b32_e32 v56, 1, v66
	ds_write2_b64 v57, v[9:10], v[80:81] offset1:24
	ds_write2_b64 v57, v[82:83], v[62:63] offset0:48 offset1:72
	ds_write2_b64 v57, v[78:79], v[76:77] offset0:96 offset1:120
	ds_write_b64 v57, v[60:61] offset:1152
	s_and_saveexec_b32 s1, s0
	s_cbranch_execz .LBB0_10
; %bb.9:
	v_add_f64 v[9:10], v[19:20], v[37:38]
	v_add_f64 v[60:61], v[15:16], v[41:42]
	v_add_f64 v[62:63], v[35:36], -v[27:28]
	v_add_f64 v[74:75], v[21:22], -v[39:40]
	v_add_f64 v[76:77], v[23:24], v[33:34]
	v_add_f64 v[78:79], v[17:18], -v[54:55]
	v_add_f64 v[80:81], v[9:10], v[60:61]
	v_add_f64 v[82:83], v[62:63], -v[74:75]
	v_add_f64 v[84:85], v[60:61], -v[76:77]
	;; [unrolled: 1-line block ×3, first 2 shown]
	v_add_f64 v[74:75], v[62:63], v[74:75]
	v_add_f64 v[62:63], v[78:79], -v[62:63]
	v_add_f64 v[80:81], v[76:77], v[80:81]
	v_add_f64 v[76:77], v[76:77], -v[9:10]
	v_add_f64 v[9:10], v[9:10], -v[60:61]
	v_mul_f64 v[60:61], v[82:83], s[20:21]
	v_mul_f64 v[82:83], v[84:85], s[30:31]
	;; [unrolled: 1-line block ×3, first 2 shown]
	v_add_f64 v[74:75], v[74:75], v[78:79]
	v_add_f64 v[5:6], v[5:6], v[80:81]
	v_mul_f64 v[88:89], v[76:77], s[26:27]
	v_fma_f64 v[78:79], v[62:63], s[18:19], v[60:61]
	v_fma_f64 v[76:77], v[76:77], s[26:27], v[82:83]
	v_fma_f64 v[90:91], v[9:10], s[24:25], -v[82:83]
	v_fma_f64 v[62:63], v[62:63], s[16:17], -v[84:85]
	;; [unrolled: 1-line block ×3, first 2 shown]
	v_mul_u32_u24_e32 v86, 14, v56
	v_fma_f64 v[80:81], v[80:81], s[34:35], v[5:6]
	v_fma_f64 v[9:10], v[9:10], s[22:23], -v[88:89]
	v_fma_f64 v[78:79], v[74:75], s[28:29], v[78:79]
	v_fma_f64 v[62:63], v[74:75], s[28:29], v[62:63]
	;; [unrolled: 1-line block ×3, first 2 shown]
	v_add_f64 v[76:77], v[76:77], v[80:81]
	v_add_f64 v[74:75], v[90:91], v[80:81]
	;; [unrolled: 1-line block ×4, first 2 shown]
	v_add_f64 v[80:81], v[74:75], -v[62:63]
	v_add_f64 v[82:83], v[9:10], -v[60:61]
	v_add_f64 v[62:63], v[62:63], v[74:75]
	v_add_f64 v[9:10], v[60:61], v[9:10]
	v_add_f64 v[60:61], v[76:77], -v[78:79]
	v_or_b32_e32 v74, v86, v73
	v_mul_u32_u24_e32 v74, 0x60, v74
	v_add3_u32 v74, 0, v74, v72
	ds_write2_b64 v74, v[5:6], v[84:85] offset1:24
	ds_write2_b64 v74, v[62:63], v[82:83] offset0:48 offset1:72
	ds_write2_b64 v74, v[9:10], v[80:81] offset0:96 offset1:120
	ds_write_b64 v74, v[60:61] offset:1152
.LBB0_10:
	s_or_b32 exec_lo, exec_lo, s1
	v_add_f64 v[5:6], v[7:8], v[58:59]
	v_add_f64 v[7:8], v[25:26], v[52:53]
	v_add_f64 v[9:10], v[11:12], -v[47:48]
	v_add_f64 v[11:12], v[31:32], v[45:46]
	v_add_f64 v[25:26], v[43:44], -v[29:30]
	v_add_f64 v[3:4], v[3:4], -v[50:51]
	v_add_nc_u32_e32 v53, 0x1800, v71
	v_add_nc_u32_e32 v58, 0x2400, v71
	;; [unrolled: 1-line block ×3, first 2 shown]
	s_waitcnt lgkmcnt(0)
	s_barrier
	buffer_gl0_inv
	v_add_f64 v[29:30], v[7:8], v[5:6]
	v_add_f64 v[31:32], v[5:6], -v[11:12]
	v_add_f64 v[43:44], v[25:26], -v[9:10]
	;; [unrolled: 1-line block ×3, first 2 shown]
	v_add_f64 v[9:10], v[25:26], v[9:10]
	v_add_f64 v[25:26], v[3:4], -v[25:26]
	v_add_f64 v[29:30], v[11:12], v[29:30]
	v_add_f64 v[11:12], v[11:12], -v[7:8]
	v_mul_f64 v[31:32], v[31:32], s[30:31]
	v_mul_f64 v[43:44], v[43:44], s[20:21]
	;; [unrolled: 1-line block ×3, first 2 shown]
	v_add_f64 v[3:4], v[9:10], v[3:4]
	v_add_f64 v[60:61], v[1:2], v[29:30]
	v_add_f64 v[1:2], v[7:8], -v[5:6]
	v_mul_f64 v[5:6], v[11:12], s[26:27]
	v_fma_f64 v[7:8], v[11:12], s[26:27], v[31:32]
	v_fma_f64 v[9:10], v[25:26], s[18:19], v[43:44]
	v_fma_f64 v[11:12], v[45:46], s[14:15], -v[43:44]
	v_fma_f64 v[25:26], v[25:26], s[16:17], -v[47:48]
	v_fma_f64 v[29:30], v[29:30], s[34:35], v[60:61]
	v_fma_f64 v[31:32], v[1:2], s[24:25], -v[31:32]
	v_fma_f64 v[1:2], v[1:2], s[22:23], -v[5:6]
	v_fma_f64 v[45:46], v[3:4], s[28:29], v[9:10]
	v_fma_f64 v[47:48], v[3:4], s[28:29], v[11:12]
	;; [unrolled: 1-line block ×3, first 2 shown]
	v_add_f64 v[62:63], v[7:8], v[29:30]
	v_add_f64 v[31:32], v[31:32], v[29:30]
	;; [unrolled: 1-line block ×3, first 2 shown]
	v_mul_u32_u24_e32 v1, 0x60, v68
	v_add3_u32 v50, 0, v1, v72
	ds_read_b64 v[29:30], v71
	ds_read_b64 v[43:44], v71 offset:4032
	ds_read2_b64 v[9:12], v53 offset0:72 offset1:240
	ds_read2_b64 v[5:8], v58 offset0:24 offset1:192
	;; [unrolled: 1-line block ×3, first 2 shown]
	v_add_nc_u32_e32 v51, 0xfffffac0, v50
	v_add_nc_u32_e32 v52, 0xa80, v50
	v_add_f64 v[76:77], v[62:63], -v[45:46]
	v_add_f64 v[78:79], v[31:32], -v[25:26]
	v_add_f64 v[80:81], v[47:48], v[74:75]
	v_add_f64 v[74:75], v[74:75], -v[47:48]
	v_add_f64 v[82:83], v[25:26], v[31:32]
	v_add_f64 v[62:63], v[45:46], v[62:63]
	ds_read_b64 v[47:48], v50
	ds_read_b64 v[31:32], v71 offset:14784
	ds_read_b64 v[45:46], v50 offset:2688
	ds_read_b64 v[25:26], v51
	s_waitcnt lgkmcnt(0)
	s_barrier
	buffer_gl0_inv
	ds_write2_b64 v57, v[60:61], v[76:77] offset1:24
	ds_write2_b64 v57, v[78:79], v[80:81] offset0:48 offset1:72
	ds_write2_b64 v57, v[74:75], v[82:83] offset0:96 offset1:120
	ds_write_b64 v57, v[62:63] offset:1152
	s_and_saveexec_b32 s1, s0
	s_cbranch_execz .LBB0_12
; %bb.11:
	v_add_f64 v[17:18], v[17:18], v[54:55]
	v_add_f64 v[21:22], v[21:22], v[39:40]
	;; [unrolled: 1-line block ×3, first 2 shown]
	v_add_f64 v[19:20], v[19:20], -v[37:38]
	v_add_f64 v[23:24], v[33:34], -v[23:24]
	;; [unrolled: 1-line block ×3, first 2 shown]
	s_mov_b32 s14, 0x37e14327
	s_mov_b32 s15, 0x3fe948f6
	;; [unrolled: 1-line block ×10, first 2 shown]
	v_add_f64 v[33:34], v[21:22], v[17:18]
	v_add_f64 v[35:36], v[17:18], -v[27:28]
	v_add_f64 v[37:38], v[27:28], -v[21:22]
	;; [unrolled: 1-line block ×5, first 2 shown]
	v_add_f64 v[19:20], v[23:24], v[19:20]
	v_add_f64 v[21:22], v[15:16], -v[23:24]
	v_add_f64 v[27:28], v[27:28], v[33:34]
	v_mul_f64 v[23:24], v[35:36], s[14:15]
	s_mov_b32 s14, 0x429ad128
	v_mul_f64 v[33:34], v[37:38], s[16:17]
	v_mul_f64 v[35:36], v[39:40], s[18:19]
	s_mov_b32 s15, 0xbfebfeb5
	s_mov_b32 s18, 0xaaaaaaaa
	v_mul_f64 v[39:40], v[41:42], s[14:15]
	s_mov_b32 s19, 0xbff2aaaa
	v_add_f64 v[15:16], v[19:20], v[15:16]
	v_add_f64 v[13:14], v[13:14], v[27:28]
	v_fma_f64 v[19:20], v[37:38], s[16:17], v[23:24]
	v_fma_f64 v[33:34], v[17:18], s[20:21], -v[33:34]
	s_mov_b32 s21, 0xbfe77f67
	v_fma_f64 v[37:38], v[21:22], s[22:23], v[35:36]
	s_mov_b32 s23, 0x3fd5d0dc
	v_fma_f64 v[35:36], v[41:42], s[14:15], -v[35:36]
	v_fma_f64 v[21:22], v[21:22], s[22:23], -v[39:40]
	;; [unrolled: 1-line block ×3, first 2 shown]
	s_mov_b32 s14, 0x37c3f68c
	s_mov_b32 s15, 0xbfdc38aa
	v_mul_u32_u24_e32 v39, 14, v56
	v_fma_f64 v[27:28], v[27:28], s[18:19], v[13:14]
	v_fma_f64 v[23:24], v[15:16], s[14:15], v[37:38]
	;; [unrolled: 1-line block ×4, first 2 shown]
	v_add_f64 v[19:20], v[19:20], v[27:28]
	v_add_f64 v[17:18], v[17:18], v[27:28]
	;; [unrolled: 1-line block ×3, first 2 shown]
	v_add_f64 v[27:28], v[19:20], -v[23:24]
	v_add_f64 v[33:34], v[17:18], -v[15:16]
	v_add_f64 v[37:38], v[35:36], v[21:22]
	v_add_f64 v[21:22], v[21:22], -v[35:36]
	v_add_f64 v[15:16], v[15:16], v[17:18]
	v_add_f64 v[17:18], v[23:24], v[19:20]
	v_or_b32_e32 v19, v39, v73
	v_mul_u32_u24_e32 v19, 0x60, v19
	v_add3_u32 v19, 0, v19, v72
	ds_write2_b64 v19, v[13:14], v[27:28] offset1:24
	ds_write2_b64 v19, v[33:34], v[37:38] offset0:48 offset1:72
	ds_write2_b64 v19, v[21:22], v[15:16] offset0:96 offset1:120
	ds_write_b64 v19, v[17:18] offset:1152
.LBB0_12:
	s_or_b32 exec_lo, exec_lo, s1
	v_mul_lo_u16 v13, v70, 37
	v_mov_b32_e32 v24, 5
	s_waitcnt lgkmcnt(0)
	s_barrier
	buffer_gl0_inv
	v_lshrrev_b16 v13, 9, v13
	ds_read_b64 v[27:28], v71
	ds_read_b64 v[22:23], v50
	;; [unrolled: 1-line block ×3, first 2 shown]
	ds_read2_b64 v[14:17], v53 offset0:72 offset1:240
	ds_read2_b64 v[18:21], v58 offset0:24 offset1:192
	;; [unrolled: 1-line block ×3, first 2 shown]
	ds_read_b64 v[61:62], v51
	ds_read_b64 v[77:78], v71 offset:4032
	ds_read_b64 v[79:80], v71 offset:14784
	s_mul_i32 s1, s10, s12
	s_mov_b32 s10, 0xe8584caa
	s_mul_i32 s0, s8, s13
	v_mul_lo_u16 v13, v13, 14
	s_mov_b32 s11, 0xbfebb67a
	s_mov_b32 s13, 0x3febb67a
	;; [unrolled: 1-line block ×3, first 2 shown]
	s_add_i32 s1, s1, s0
	v_sub_nc_u16 v13, v70, v13
	v_cmp_gt_u32_e64 s0, 0x3f0, v0
	v_mul_u32_u24_sdwa v24, v13, v24 dst_sel:DWORD dst_unused:UNUSED_PAD src0_sel:BYTE_0 src1_sel:DWORD
	v_lshlrev_b32_e32 v24, 4, v24
	s_clause 0x3
	global_load_dwordx4 v[37:40], v24, s[6:7] offset:240
	global_load_dwordx4 v[53:56], v24, s[6:7] offset:224
	;; [unrolled: 1-line block ×4, first 2 shown]
	s_waitcnt vmcnt(0) lgkmcnt(7)
	v_mul_f64 v[81:82], v[22:23], v[75:76]
	v_fma_f64 v[81:82], v[47:48], v[73:74], v[81:82]
	v_mul_f64 v[47:48], v[47:48], v[75:76]
	v_fma_f64 v[73:74], v[22:23], v[73:74], -v[47:48]
	s_waitcnt lgkmcnt(6)
	v_mul_f64 v[22:23], v[41:42], v[59:60]
	v_fma_f64 v[75:76], v[45:46], v[57:58], v[22:23]
	v_mul_f64 v[22:23], v[45:46], v[59:60]
	v_fma_f64 v[57:58], v[41:42], v[57:58], -v[22:23]
	s_waitcnt lgkmcnt(5)
	;; [unrolled: 5-line block ×3, first 2 shown]
	v_mul_f64 v[16:17], v[20:21], v[39:40]
	v_fma_f64 v[16:17], v[7:8], v[37:38], v[16:17]
	v_mul_f64 v[7:8], v[7:8], v[39:40]
	v_fma_f64 v[53:54], v[20:21], v[37:38], -v[7:8]
	global_load_dwordx4 v[20:23], v24, s[6:7] offset:256
	s_waitcnt vmcnt(0) lgkmcnt(3)
	v_mul_f64 v[7:8], v[35:36], v[22:23]
	v_fma_f64 v[55:56], v[3:4], v[20:21], v[7:8]
	v_mul_f64 v[3:4], v[3:4], v[22:23]
	v_fma_f64 v[83:84], v[35:36], v[20:21], -v[3:4]
	v_mul_lo_u16 v3, v66, 37
	v_lshrrev_b16 v3, 9, v3
	v_mul_lo_u16 v4, v3, 14
	v_sub_nc_u16 v4, v66, v4
	v_and_b32_e32 v4, 0xff, v4
	v_mul_u32_u24_e32 v7, 5, v4
	v_lshlrev_b32_e32 v24, 4, v7
	s_clause 0x3
	global_load_dwordx4 v[20:23], v24, s[6:7] offset:240
	global_load_dwordx4 v[35:38], v24, s[6:7] offset:224
	;; [unrolled: 1-line block ×4, first 2 shown]
	s_waitcnt vmcnt(0) lgkmcnt(1)
	v_mul_f64 v[7:8], v[77:78], v[47:48]
	v_fma_f64 v[85:86], v[43:44], v[45:46], v[7:8]
	v_mul_f64 v[7:8], v[43:44], v[47:48]
	v_add_f64 v[47:48], v[59:60], -v[55:56]
	v_fma_f64 v[43:44], v[77:78], v[45:46], -v[7:8]
	v_mul_f64 v[7:8], v[14:15], v[41:42]
	v_fma_f64 v[45:46], v[9:10], v[39:40], v[7:8]
	v_mul_f64 v[7:8], v[9:10], v[41:42]
	v_fma_f64 v[9:10], v[14:15], v[39:40], -v[7:8]
	v_mul_f64 v[7:8], v[18:19], v[37:38]
	v_add_f64 v[39:40], v[11:12], -v[83:84]
	v_fma_f64 v[14:15], v[5:6], v[35:36], v[7:8]
	v_mul_f64 v[5:6], v[5:6], v[37:38]
	v_add_f64 v[37:38], v[59:60], v[55:56]
	v_fma_f64 v[18:19], v[18:19], v[35:36], -v[5:6]
	v_mul_f64 v[5:6], v[33:34], v[22:23]
	v_fma_f64 v[37:38], v[37:38], -0.5, v[81:82]
	v_fma_f64 v[35:36], v[1:2], v[20:21], v[5:6]
	global_load_dwordx4 v[5:8], v24, s[6:7] offset:256
	v_mul_f64 v[1:2], v[1:2], v[22:23]
	v_add_f64 v[22:23], v[75:76], v[16:17]
	v_fma_f64 v[41:42], v[39:40], s[10:11], v[37:38]
	v_fma_f64 v[37:38], v[39:40], s[12:13], v[37:38]
	v_add_f64 v[39:40], v[73:74], v[11:12]
	v_add_f64 v[11:12], v[11:12], v[83:84]
	s_waitcnt vmcnt(0) lgkmcnt(0)
	s_barrier
	buffer_gl0_inv
	v_fma_f64 v[1:2], v[33:34], v[20:21], -v[1:2]
	v_fma_f64 v[22:23], v[22:23], -0.5, v[29:30]
	v_add_f64 v[33:34], v[57:58], v[53:54]
	v_add_f64 v[39:40], v[39:40], v[83:84]
	v_fma_f64 v[11:12], v[11:12], -0.5, v[73:74]
	v_mul_f64 v[20:21], v[79:80], v[7:8]
	v_mul_f64 v[7:8], v[31:32], v[7:8]
	v_fma_f64 v[20:21], v[31:32], v[5:6], v[20:21]
	v_fma_f64 v[5:6], v[79:80], v[5:6], -v[7:8]
	v_add_f64 v[7:8], v[29:30], v[75:76]
	v_add_f64 v[29:30], v[57:58], -v[53:54]
	v_add_f64 v[7:8], v[7:8], v[16:17]
	v_fma_f64 v[31:32], v[29:30], s[10:11], v[22:23]
	v_fma_f64 v[22:23], v[29:30], s[12:13], v[22:23]
	v_add_f64 v[29:30], v[27:28], v[57:58]
	v_fma_f64 v[27:28], v[33:34], -0.5, v[27:28]
	v_add_f64 v[16:17], v[75:76], -v[16:17]
	v_add_f64 v[29:30], v[29:30], v[53:54]
	v_fma_f64 v[53:54], v[47:48], s[12:13], v[11:12]
	v_fma_f64 v[33:34], v[16:17], s[12:13], v[27:28]
	;; [unrolled: 1-line block ×3, first 2 shown]
	v_add_f64 v[27:28], v[81:82], v[59:60]
	v_fma_f64 v[11:12], v[47:48], s[10:11], v[11:12]
	v_add_f64 v[75:76], v[29:30], v[39:40]
	v_add_f64 v[29:30], v[29:30], -v[39:40]
	v_add_f64 v[27:28], v[27:28], v[55:56]
	v_mul_f64 v[55:56], v[53:54], s[10:11]
	v_mul_f64 v[53:54], v[53:54], 0.5
	v_mul_f64 v[59:60], v[11:12], s[10:11]
	v_mul_f64 v[11:12], v[11:12], -0.5
	v_add_f64 v[47:48], v[7:8], v[27:28]
	v_fma_f64 v[55:56], v[41:42], 0.5, v[55:56]
	v_fma_f64 v[41:42], v[41:42], s[12:13], v[53:54]
	v_add_f64 v[7:8], v[7:8], -v[27:28]
	v_fma_f64 v[11:12], v[37:38], s[12:13], v[11:12]
	v_fma_f64 v[59:60], v[37:38], -0.5, v[59:60]
	v_add_f64 v[57:58], v[31:32], v[55:56]
	v_add_f64 v[53:54], v[33:34], v[41:42]
	v_add_f64 v[27:28], v[31:32], -v[55:56]
	v_add_f64 v[31:32], v[33:34], -v[41:42]
	v_add_f64 v[33:34], v[45:46], v[35:36]
	v_add_f64 v[37:38], v[16:17], v[11:12]
	v_add_f64 v[16:17], v[16:17], -v[11:12]
	v_add_f64 v[11:12], v[25:26], v[45:46]
	v_add_f64 v[41:42], v[14:15], v[20:21]
	;; [unrolled: 1-line block ×3, first 2 shown]
	v_add_f64 v[22:23], v[22:23], -v[59:60]
	v_fma_f64 v[24:25], v[33:34], -0.5, v[25:26]
	v_add_f64 v[33:34], v[9:10], -v[1:2]
	v_add_f64 v[11:12], v[11:12], v[35:36]
	v_fma_f64 v[41:42], v[41:42], -0.5, v[85:86]
	v_fma_f64 v[39:40], v[33:34], s[10:11], v[24:25]
	v_fma_f64 v[24:25], v[33:34], s[12:13], v[24:25]
	v_add_f64 v[33:34], v[61:62], v[9:10]
	v_add_f64 v[33:34], v[33:34], v[1:2]
	;; [unrolled: 1-line block ×3, first 2 shown]
	v_add_f64 v[9:10], v[45:46], -v[35:36]
	v_add_f64 v[45:46], v[18:19], -v[5:6]
	v_fma_f64 v[1:2], v[1:2], -0.5, v[61:62]
	v_fma_f64 v[55:56], v[45:46], s[10:11], v[41:42]
	v_fma_f64 v[41:42], v[45:46], s[12:13], v[41:42]
	v_add_f64 v[45:46], v[43:44], v[18:19]
	v_fma_f64 v[35:36], v[9:10], s[12:13], v[1:2]
	v_fma_f64 v[1:2], v[9:10], s[10:11], v[1:2]
	v_add_f64 v[9:10], v[85:86], v[14:15]
	v_add_f64 v[14:15], v[14:15], -v[20:21]
	v_add_f64 v[45:46], v[45:46], v[5:6]
	v_add_f64 v[5:6], v[18:19], v[5:6]
	;; [unrolled: 1-line block ×4, first 2 shown]
	v_fma_f64 v[5:6], v[5:6], -0.5, v[43:44]
	v_fma_f64 v[18:19], v[14:15], s[12:13], v[5:6]
	v_fma_f64 v[5:6], v[14:15], s[10:11], v[5:6]
	v_add_f64 v[14:15], v[11:12], v[9:10]
	v_add_f64 v[9:10], v[11:12], -v[9:10]
	v_mul_f64 v[20:21], v[18:19], s[10:11]
	v_mul_f64 v[59:60], v[5:6], s[10:11]
	v_mul_f64 v[5:6], v[5:6], -0.5
	v_mul_f64 v[18:19], v[18:19], 0.5
	v_fma_f64 v[20:21], v[55:56], 0.5, v[20:21]
	v_fma_f64 v[59:60], v[41:42], -0.5, v[59:60]
	v_fma_f64 v[5:6], v[41:42], s[12:13], v[5:6]
	v_fma_f64 v[18:19], v[55:56], s[12:13], v[18:19]
	v_add_f64 v[43:44], v[39:40], v[20:21]
	v_add_f64 v[61:62], v[24:25], v[59:60]
	;; [unrolled: 1-line block ×3, first 2 shown]
	v_add_f64 v[11:12], v[39:40], -v[20:21]
	v_add_f64 v[20:21], v[24:25], -v[59:60]
	;; [unrolled: 1-line block ×4, first 2 shown]
	v_mov_b32_e32 v1, 0x187
	v_add_f64 v[55:56], v[35:36], v[18:19]
	v_add_f64 v[18:19], v[35:36], -v[18:19]
	v_mul_u32_u24_sdwa v1, v0, v1 dst_sel:DWORD dst_unused:UNUSED_PAD src0_sel:WORD_0 src1_sel:DWORD
	v_lshrrev_b32_e32 v1, 16, v1
	v_mul_lo_u16 v1, 0x54, v1
	v_add_nc_u32_sdwa v1, v1, v13 dst_sel:DWORD dst_unused:UNUSED_PAD src0_sel:WORD_0 src1_sel:BYTE_0
	v_mul_u32_u24_e32 v1, 0x60, v1
	v_add3_u32 v13, 0, v1, v72
	v_and_b32_e32 v1, 0xffff, v3
	ds_write2_b64 v13, v[47:48], v[57:58] offset1:168
	v_mad_u32_u24 v1, 0x54, v1, v4
	v_add_nc_u32_e32 v57, 0x1400, v13
	v_add_nc_u32_e32 v26, 0x800, v13
	v_mul_u32_u24_e32 v1, 0x60, v1
	ds_write2_b64 v57, v[27:28], v[22:23] offset0:32 offset1:200
	ds_write2_b64 v26, v[73:74], v[7:8] offset0:80 offset1:248
	v_add_nc_u32_e32 v23, 0x3400, v71
	v_add3_u32 v22, 0, v1, v72
	ds_write2_b64 v22, v[14:15], v[43:44] offset1:168
	v_add_nc_u32_e32 v14, 0x800, v22
	v_add_nc_u32_e32 v15, 0x1400, v22
	ds_write2_b64 v14, v[61:62], v[9:10] offset0:80 offset1:248
	v_mul_u32_u24_e32 v9, 0x60, v65
	ds_write2_b64 v15, v[11:12], v[20:21] offset0:32 offset1:200
	v_add_nc_u32_e32 v20, 0x1e00, v71
	v_add_nc_u32_e32 v21, 0x2800, v71
	s_waitcnt lgkmcnt(0)
	v_add3_u32 v27, 0, v9, v72
	s_barrier
	buffer_gl0_inv
	ds_read_b64 v[35:36], v71
	ds_read2_b64 v[1:4], v20 offset0:48 offset1:216
	ds_read_b64 v[39:40], v51
	ds_read_b64 v[43:44], v50
	ds_read2_b64 v[5:8], v21 offset0:64 offset1:232
	ds_read_b64 v[45:46], v27
	ds_read_b64 v[47:48], v52
	ds_read2_b64 v[9:12], v23 offset0:16 offset1:184
	ds_read_b64 v[72:73], v27 offset:2688
	s_waitcnt lgkmcnt(0)
	s_barrier
	buffer_gl0_inv
	ds_write2_b64 v13, v[75:76], v[53:54] offset1:168
	ds_write2_b64 v26, v[37:38], v[29:30] offset0:80 offset1:248
	ds_write2_b64 v57, v[31:32], v[16:17] offset0:32 offset1:200
	ds_write2_b64 v22, v[77:78], v[55:56] offset1:168
	ds_write2_b64 v14, v[41:42], v[24:25] offset0:80 offset1:248
	ds_write2_b64 v15, v[18:19], v[33:34] offset0:32 offset1:200
	v_add_nc_u32_e32 v25, 0xffffffac, v70
	v_mov_b32_e32 v61, 0
	s_waitcnt lgkmcnt(0)
	s_barrier
	buffer_gl0_inv
	v_cndmask_b32_e64 v60, v25, v70, s0
	ds_read_b64 v[29:30], v71
	ds_read2_b64 v[13:16], v20 offset0:48 offset1:216
	ds_read_b64 v[31:32], v51
	ds_read_b64 v[33:34], v50
	ds_read2_b64 v[17:20], v21 offset0:64 offset1:232
	ds_read_b64 v[37:38], v27
	ds_read_b64 v[41:42], v52
	ds_read2_b64 v[21:24], v23 offset0:16 offset1:184
	ds_read_b64 v[74:75], v27 offset:2688
	v_mov_b32_e32 v59, v61
	v_mov_b32_e32 v57, v61
	;; [unrolled: 1-line block ×3, first 2 shown]
	v_lshlrev_b64 v[25:26], 4, v[60:61]
	v_mov_b32_e32 v53, v61
	v_add_co_u32 v25, s0, s6, v25
	v_add_co_ci_u32_e64 v26, s0, s7, v26, s0
	v_cmp_gt_u32_e64 s0, 0x348, v0
	global_load_dwordx4 v[25:28], v[25:26], off offset:1312
	s_waitcnt vmcnt(0) lgkmcnt(7)
	v_mul_f64 v[50:51], v[13:14], v[27:28]
	v_fma_f64 v[62:63], v[1:2], v[25:26], v[50:51]
	v_mul_f64 v[1:2], v[1:2], v[27:28]
	v_mov_b32_e32 v51, v61
	v_fma_f64 v[13:14], v[13:14], v[25:26], -v[1:2]
	v_add_nc_u32_e32 v1, 0xffffffba, v70
	v_cndmask_b32_e64 v58, v1, v66, s0
	v_lshlrev_b64 v[1:2], 4, v[58:59]
	v_add_co_u32 v1, s0, s6, v1
	v_add_co_ci_u32_e64 v2, s0, s7, v2, s0
	v_cmp_gt_u32_e64 s0, 0x2a0, v0
	global_load_dwordx4 v[25:28], v[1:2], off offset:1312
	s_waitcnt vmcnt(0)
	v_mul_f64 v[1:2], v[15:16], v[27:28]
	v_fma_f64 v[76:77], v[3:4], v[25:26], v[1:2]
	v_mul_f64 v[1:2], v[3:4], v[27:28]
	v_fma_f64 v[25:26], v[15:16], v[25:26], -v[1:2]
	v_subrev_nc_u32_e32 v1, 56, v70
	v_cndmask_b32_e64 v56, v1, v68, s0
	v_lshlrev_b64 v[1:2], 4, v[56:57]
	v_add_co_u32 v1, s0, s6, v1
	v_add_co_ci_u32_e64 v2, s0, s7, v2, s0
	v_cmp_gt_u32_e64 s0, 0x1f8, v0
	global_load_dwordx4 v[1:4], v[1:2], off offset:1312
	s_waitcnt vmcnt(0) lgkmcnt(4)
	v_mul_f64 v[15:16], v[17:18], v[3:4]
	v_mul_f64 v[3:4], v[5:6], v[3:4]
	v_fma_f64 v[27:28], v[5:6], v[1:2], v[15:16]
	v_fma_f64 v[5:6], v[17:18], v[1:2], -v[3:4]
	v_subrev_nc_u32_e32 v1, 42, v70
	v_add_f64 v[17:18], v[31:32], -v[25:26]
	v_cndmask_b32_e64 v54, v1, v65, s0
	v_lshlrev_b64 v[1:2], 4, v[54:55]
	v_add_co_u32 v1, s0, s6, v1
	v_add_co_ci_u32_e64 v2, s0, s7, v2, s0
	v_cmp_gt_u32_e64 s0, 0x150, v0
	v_add_f64 v[25:26], v[33:34], -v[5:6]
	global_load_dwordx4 v[1:4], v[1:2], off offset:1312
	s_waitcnt vmcnt(0)
	v_mul_f64 v[15:16], v[19:20], v[3:4]
	v_mul_f64 v[3:4], v[7:8], v[3:4]
	v_fma_f64 v[78:79], v[7:8], v[1:2], v[15:16]
	v_fma_f64 v[80:81], v[19:20], v[1:2], -v[3:4]
	v_subrev_nc_u32_e32 v1, 28, v70
	v_add_f64 v[15:16], v[39:40], -v[76:77]
	v_cndmask_b32_e64 v52, v1, v64, s0
	v_lshlrev_b64 v[1:2], 4, v[52:53]
	v_mul_lo_u32 v53, v60, v49
	v_add_co_u32 v1, s0, s6, v1
	v_add_co_ci_u32_e64 v2, s0, s7, v2, s0
	v_cmp_gt_u32_e64 s0, 0xa8, v0
	v_lshrrev_b32_e32 v5, 1, v53
	global_load_dwordx4 v[1:4], v[1:2], off offset:1312
	v_and_b32_e32 v5, 0x1f0, v5
	s_waitcnt vmcnt(0) lgkmcnt(1)
	v_mul_f64 v[7:8], v[21:22], v[3:4]
	v_mul_f64 v[3:4], v[9:10], v[3:4]
	v_fma_f64 v[82:83], v[9:10], v[1:2], v[7:8]
	v_fma_f64 v[84:85], v[21:22], v[1:2], -v[3:4]
	v_add_nc_u32_e32 v1, -14, v70
	v_add_f64 v[9:10], v[29:30], -v[13:14]
	v_fma_f64 v[21:22], v[33:34], 2.0, -v[25:26]
	v_add_f64 v[33:34], v[37:38], -v[80:81]
	v_fma_f64 v[13:14], v[31:32], 2.0, -v[17:18]
	v_cndmask_b32_e64 v50, v1, v67, s0
	v_add_f64 v[31:32], v[45:46], -v[78:79]
	v_lshlrev_b64 v[1:2], 4, v[50:51]
	v_mul_lo_u32 v51, 0x54, v49
	v_add_co_u32 v1, s0, s6, v1
	v_add_co_ci_u32_e64 v2, s0, s7, v2, s0
	s_add_i32 s0, 0, 0x3f00
	s_mov_b32 s7, 0x31014000
	v_add_nc_u32_e32 v5, s0, v5
	global_load_dwordx4 v[1:4], v[1:2], off offset:1312
	v_fma_f64 v[88:89], v[29:30], 2.0, -v[9:10]
	v_fma_f64 v[29:30], v[37:38], 2.0, -v[33:34]
	v_add_f64 v[37:38], v[47:48], -v[82:83]
	s_mov_b32 s6, -2
	s_waitcnt vmcnt(0)
	v_mul_f64 v[7:8], v[23:24], v[3:4]
	v_mul_f64 v[3:4], v[11:12], v[3:4]
	v_fma_f64 v[70:71], v[11:12], v[1:2], v[7:8]
	v_add_f64 v[7:8], v[35:36], -v[62:63]
	v_fma_f64 v[1:2], v[23:24], v[1:2], -v[3:4]
	v_fma_f64 v[11:12], v[39:40], 2.0, -v[15:16]
	v_add_f64 v[23:24], v[43:44], -v[27:28]
	v_fma_f64 v[27:28], v[45:46], 2.0, -v[31:32]
	v_fma_f64 v[86:87], v[35:36], 2.0, -v[7:8]
	;; [unrolled: 1-line block ×3, first 2 shown]
	v_add_f64 v[47:48], v[72:73], -v[70:71]
	s_waitcnt lgkmcnt(0)
	v_add_f64 v[61:62], v[74:75], -v[1:2]
	v_and_b32_e32 v1, 31, v53
	v_fma_f64 v[19:20], v[43:44], 2.0, -v[23:24]
	v_add_f64 v[43:44], v[41:42], -v[84:85]
	v_lshl_add_u32 v1, v1, 4, 0
	ds_read_b128 v[1:4], v1 offset:16128
	v_fma_f64 v[39:40], v[72:73], 2.0, -v[47:48]
	ds_read_b128 v[70:73], v5 offset:512
	v_fma_f64 v[45:46], v[74:75], 2.0, -v[61:62]
	v_fma_f64 v[41:42], v[41:42], 2.0, -v[43:44]
	s_waitcnt lgkmcnt(0)
	v_mul_f64 v[5:6], v[3:4], v[72:73]
	v_fma_f64 v[5:6], v[1:2], v[70:71], -v[5:6]
	v_mul_f64 v[1:2], v[1:2], v[72:73]
	v_fma_f64 v[70:71], v[3:4], v[70:71], v[1:2]
	v_lshrrev_b32_e32 v1, 6, v53
	v_add_nc_u32_e32 v53, v53, v51
	v_and_b32_e32 v1, 0x1f0, v1
	v_add_nc_u32_e32 v1, s0, v1
	ds_read_b128 v[1:4], v1 offset:1024
	s_waitcnt lgkmcnt(0)
	v_mul_f64 v[72:73], v[70:71], v[3:4]
	v_mul_f64 v[3:4], v[5:6], v[3:4]
	v_fma_f64 v[72:73], v[1:2], v[5:6], -v[72:73]
	v_fma_f64 v[3:4], v[1:2], v[70:71], v[3:4]
	v_and_b32_e32 v5, 31, v53
	v_lshl_add_u32 v5, v5, 4, 0
	v_mul_f64 v[1:2], v[88:89], v[3:4]
	v_mul_f64 v[3:4], v[86:87], v[3:4]
	v_fma_f64 v[1:2], v[86:87], v[72:73], v[1:2]
	v_fma_f64 v[3:4], v[88:89], v[72:73], -v[3:4]
	ds_read_b128 v[70:73], v5 offset:16128
	v_lshrrev_b32_e32 v5, 1, v53
	v_lshrrev_b32_e32 v53, 6, v53
	v_and_b32_e32 v5, 0x1f0, v5
	v_and_b32_e32 v53, 0x1f0, v53
	v_add_nc_u32_e32 v5, s0, v5
	v_add_nc_u32_e32 v53, s0, v53
	ds_read_b128 v[74:77], v5 offset:512
	s_waitcnt lgkmcnt(0)
	v_mul_f64 v[5:6], v[72:73], v[76:77]
	v_fma_f64 v[5:6], v[70:71], v[74:75], -v[5:6]
	v_mul_f64 v[70:71], v[70:71], v[76:77]
	v_fma_f64 v[74:75], v[72:73], v[74:75], v[70:71]
	ds_read_b128 v[70:73], v53 offset:1024
	v_mul_lo_u32 v53, v58, v49
	v_lshrrev_b32_e32 v55, 6, v53
	v_and_b32_e32 v55, 0x1f0, v55
	v_add_nc_u32_e32 v55, s0, v55
	s_waitcnt lgkmcnt(0)
	v_mul_f64 v[76:77], v[74:75], v[72:73]
	v_fma_f64 v[76:77], v[70:71], v[5:6], -v[76:77]
	v_mul_f64 v[5:6], v[5:6], v[72:73]
	v_fma_f64 v[70:71], v[70:71], v[74:75], v[5:6]
	v_mul_f64 v[5:6], v[9:10], v[70:71]
	v_fma_f64 v[5:6], v[7:8], v[76:77], v[5:6]
	v_mul_f64 v[7:8], v[7:8], v[70:71]
	v_fma_f64 v[7:8], v[9:10], v[76:77], -v[7:8]
	v_and_b32_e32 v9, 31, v53
	v_lshl_add_u32 v9, v9, 4, 0
	ds_read_b128 v[70:73], v9 offset:16128
	v_lshrrev_b32_e32 v9, 1, v53
	v_add_nc_u32_e32 v53, v53, v51
	v_and_b32_e32 v9, 0x1f0, v9
	v_add_nc_u32_e32 v9, s0, v9
	ds_read_b128 v[74:77], v9 offset:512
	s_waitcnt lgkmcnt(0)
	v_mul_f64 v[9:10], v[72:73], v[76:77]
	v_fma_f64 v[9:10], v[70:71], v[74:75], -v[9:10]
	v_mul_f64 v[70:71], v[70:71], v[76:77]
	v_fma_f64 v[74:75], v[72:73], v[74:75], v[70:71]
	ds_read_b128 v[70:73], v55 offset:1024
	s_waitcnt lgkmcnt(0)
	v_mul_f64 v[76:77], v[74:75], v[72:73]
	v_fma_f64 v[76:77], v[70:71], v[9:10], -v[76:77]
	v_mul_f64 v[9:10], v[9:10], v[72:73]
	v_fma_f64 v[70:71], v[70:71], v[74:75], v[9:10]
	v_mul_f64 v[9:10], v[13:14], v[70:71]
	v_fma_f64 v[9:10], v[11:12], v[76:77], v[9:10]
	v_mul_f64 v[11:12], v[11:12], v[70:71]
	v_fma_f64 v[11:12], v[13:14], v[76:77], -v[11:12]
	v_and_b32_e32 v13, 31, v53
	v_lshl_add_u32 v13, v13, 4, 0
	ds_read_b128 v[70:73], v13 offset:16128
	v_lshrrev_b32_e32 v13, 1, v53
	v_lshrrev_b32_e32 v53, 6, v53
	v_and_b32_e32 v13, 0x1f0, v13
	v_and_b32_e32 v53, 0x1f0, v53
	v_add_nc_u32_e32 v13, s0, v13
	v_add_nc_u32_e32 v53, s0, v53
	ds_read_b128 v[74:77], v13 offset:512
	s_waitcnt lgkmcnt(0)
	v_mul_f64 v[13:14], v[72:73], v[76:77]
	v_fma_f64 v[13:14], v[70:71], v[74:75], -v[13:14]
	v_mul_f64 v[70:71], v[70:71], v[76:77]
	v_fma_f64 v[74:75], v[72:73], v[74:75], v[70:71]
	ds_read_b128 v[70:73], v53 offset:1024
	v_mul_lo_u32 v53, v56, v49
	v_lshrrev_b32_e32 v55, 6, v53
	v_and_b32_e32 v55, 0x1f0, v55
	v_add_nc_u32_e32 v55, s0, v55
	s_waitcnt lgkmcnt(0)
	v_mul_f64 v[76:77], v[74:75], v[72:73]
	v_fma_f64 v[76:77], v[70:71], v[13:14], -v[76:77]
	v_mul_f64 v[13:14], v[13:14], v[72:73]
	v_fma_f64 v[70:71], v[70:71], v[74:75], v[13:14]
	v_mul_f64 v[13:14], v[17:18], v[70:71]
	v_fma_f64 v[13:14], v[15:16], v[76:77], v[13:14]
	v_mul_f64 v[15:16], v[15:16], v[70:71]
	v_fma_f64 v[15:16], v[17:18], v[76:77], -v[15:16]
	v_and_b32_e32 v17, 31, v53
	v_lshl_add_u32 v17, v17, 4, 0
	ds_read_b128 v[70:73], v17 offset:16128
	v_lshrrev_b32_e32 v17, 1, v53
	v_add_nc_u32_e32 v53, v53, v51
	v_and_b32_e32 v17, 0x1f0, v17
	v_add_nc_u32_e32 v17, s0, v17
	ds_read_b128 v[74:77], v17 offset:512
	s_waitcnt lgkmcnt(0)
	v_mul_f64 v[17:18], v[72:73], v[76:77]
	v_fma_f64 v[17:18], v[70:71], v[74:75], -v[17:18]
	v_mul_f64 v[70:71], v[70:71], v[76:77]
	v_fma_f64 v[74:75], v[72:73], v[74:75], v[70:71]
	ds_read_b128 v[70:73], v55 offset:1024
	s_waitcnt lgkmcnt(0)
	v_mul_f64 v[76:77], v[74:75], v[72:73]
	v_fma_f64 v[76:77], v[70:71], v[17:18], -v[76:77]
	v_mul_f64 v[17:18], v[17:18], v[72:73]
	v_fma_f64 v[70:71], v[70:71], v[74:75], v[17:18]
	v_mul_f64 v[17:18], v[21:22], v[70:71]
	v_fma_f64 v[17:18], v[19:20], v[76:77], v[17:18]
	v_mul_f64 v[19:20], v[19:20], v[70:71]
	v_fma_f64 v[19:20], v[21:22], v[76:77], -v[19:20]
	v_and_b32_e32 v21, 31, v53
	v_lshl_add_u32 v21, v21, 4, 0
	ds_read_b128 v[70:73], v21 offset:16128
	v_lshrrev_b32_e32 v21, 1, v53
	v_lshrrev_b32_e32 v53, 6, v53
	v_and_b32_e32 v21, 0x1f0, v21
	v_and_b32_e32 v53, 0x1f0, v53
	v_add_nc_u32_e32 v21, s0, v21
	v_add_nc_u32_e32 v53, s0, v53
	ds_read_b128 v[74:77], v21 offset:512
	s_waitcnt lgkmcnt(0)
	v_mul_f64 v[21:22], v[72:73], v[76:77]
	v_fma_f64 v[21:22], v[70:71], v[74:75], -v[21:22]
	v_mul_f64 v[70:71], v[70:71], v[76:77]
	v_fma_f64 v[74:75], v[72:73], v[74:75], v[70:71]
	ds_read_b128 v[70:73], v53 offset:1024
	v_mul_lo_u32 v53, v54, v49
	v_lshrrev_b32_e32 v55, 6, v53
	v_and_b32_e32 v55, 0x1f0, v55
	v_add_nc_u32_e32 v55, s0, v55
	s_waitcnt lgkmcnt(0)
	v_mul_f64 v[76:77], v[74:75], v[72:73]
	v_fma_f64 v[76:77], v[70:71], v[21:22], -v[76:77]
	v_mul_f64 v[21:22], v[21:22], v[72:73]
	v_fma_f64 v[70:71], v[70:71], v[74:75], v[21:22]
	v_mul_f64 v[21:22], v[25:26], v[70:71]
	v_fma_f64 v[21:22], v[23:24], v[76:77], v[21:22]
	v_mul_f64 v[23:24], v[23:24], v[70:71]
	v_fma_f64 v[23:24], v[25:26], v[76:77], -v[23:24]
	v_and_b32_e32 v25, 31, v53
	v_lshl_add_u32 v25, v25, 4, 0
	ds_read_b128 v[70:73], v25 offset:16128
	v_lshrrev_b32_e32 v25, 1, v53
	v_add_nc_u32_e32 v53, v53, v51
	v_and_b32_e32 v25, 0x1f0, v25
	v_add_nc_u32_e32 v25, s0, v25
	ds_read_b128 v[74:77], v25 offset:512
	s_waitcnt lgkmcnt(0)
	v_mul_f64 v[25:26], v[72:73], v[76:77]
	v_fma_f64 v[25:26], v[70:71], v[74:75], -v[25:26]
	v_mul_f64 v[70:71], v[70:71], v[76:77]
	v_fma_f64 v[74:75], v[72:73], v[74:75], v[70:71]
	ds_read_b128 v[70:73], v55 offset:1024
	s_waitcnt lgkmcnt(0)
	v_mul_f64 v[76:77], v[74:75], v[72:73]
	v_fma_f64 v[76:77], v[70:71], v[25:26], -v[76:77]
	v_mul_f64 v[25:26], v[25:26], v[72:73]
	v_fma_f64 v[70:71], v[70:71], v[74:75], v[25:26]
	v_mul_f64 v[25:26], v[29:30], v[70:71]
	v_fma_f64 v[25:26], v[27:28], v[76:77], v[25:26]
	v_mul_f64 v[27:28], v[27:28], v[70:71]
	v_fma_f64 v[27:28], v[29:30], v[76:77], -v[27:28]
	v_and_b32_e32 v29, 31, v53
	v_lshl_add_u32 v29, v29, 4, 0
	ds_read_b128 v[70:73], v29 offset:16128
	v_lshrrev_b32_e32 v29, 1, v53
	v_lshrrev_b32_e32 v53, 6, v53
	v_and_b32_e32 v29, 0x1f0, v29
	v_and_b32_e32 v53, 0x1f0, v53
	v_add_nc_u32_e32 v29, s0, v29
	v_add_nc_u32_e32 v53, s0, v53
	ds_read_b128 v[74:77], v29 offset:512
	s_waitcnt lgkmcnt(0)
	v_mul_f64 v[29:30], v[72:73], v[76:77]
	v_fma_f64 v[29:30], v[70:71], v[74:75], -v[29:30]
	v_mul_f64 v[70:71], v[70:71], v[76:77]
	v_fma_f64 v[74:75], v[72:73], v[74:75], v[70:71]
	ds_read_b128 v[70:73], v53 offset:1024
	v_mul_lo_u32 v53, v52, v49
	v_mul_lo_u32 v49, v50, v49
	v_lshrrev_b32_e32 v55, 6, v53
	v_and_b32_e32 v55, 0x1f0, v55
	v_add_nc_u32_e32 v55, s0, v55
	s_waitcnt lgkmcnt(0)
	v_mul_f64 v[76:77], v[74:75], v[72:73]
	v_fma_f64 v[76:77], v[70:71], v[29:30], -v[76:77]
	v_mul_f64 v[29:30], v[29:30], v[72:73]
	v_fma_f64 v[70:71], v[70:71], v[74:75], v[29:30]
	v_mul_f64 v[29:30], v[33:34], v[70:71]
	v_fma_f64 v[29:30], v[31:32], v[76:77], v[29:30]
	v_mul_f64 v[31:32], v[31:32], v[70:71]
	v_fma_f64 v[31:32], v[33:34], v[76:77], -v[31:32]
	v_and_b32_e32 v33, 31, v53
	v_lshl_add_u32 v33, v33, 4, 0
	ds_read_b128 v[70:73], v33 offset:16128
	v_lshrrev_b32_e32 v33, 1, v53
	v_add_nc_u32_e32 v53, v53, v51
	v_and_b32_e32 v33, 0x1f0, v33
	v_add_nc_u32_e32 v33, s0, v33
	ds_read_b128 v[74:77], v33 offset:512
	s_waitcnt lgkmcnt(0)
	v_mul_f64 v[33:34], v[72:73], v[76:77]
	v_fma_f64 v[33:34], v[70:71], v[74:75], -v[33:34]
	v_mul_f64 v[70:71], v[70:71], v[76:77]
	v_fma_f64 v[74:75], v[72:73], v[74:75], v[70:71]
	ds_read_b128 v[70:73], v55 offset:1024
	s_waitcnt lgkmcnt(0)
	v_mul_f64 v[76:77], v[74:75], v[72:73]
	v_fma_f64 v[76:77], v[70:71], v[33:34], -v[76:77]
	v_mul_f64 v[33:34], v[33:34], v[72:73]
	v_fma_f64 v[70:71], v[70:71], v[74:75], v[33:34]
	v_mul_f64 v[33:34], v[41:42], v[70:71]
	v_fma_f64 v[33:34], v[35:36], v[76:77], v[33:34]
	v_mul_f64 v[35:36], v[35:36], v[70:71]
	v_fma_f64 v[35:36], v[41:42], v[76:77], -v[35:36]
	v_and_b32_e32 v41, 31, v53
	v_lshl_add_u32 v41, v41, 4, 0
	ds_read_b128 v[70:73], v41 offset:16128
	v_lshrrev_b32_e32 v41, 1, v53
	v_lshrrev_b32_e32 v53, 6, v53
	v_and_b32_e32 v41, 0x1f0, v41
	v_and_b32_e32 v53, 0x1f0, v53
	v_add_nc_u32_e32 v41, s0, v41
	v_add_nc_u32_e32 v53, s0, v53
	ds_read_b128 v[74:77], v41 offset:512
	s_waitcnt lgkmcnt(0)
	v_mul_f64 v[41:42], v[72:73], v[76:77]
	v_fma_f64 v[41:42], v[70:71], v[74:75], -v[41:42]
	v_mul_f64 v[70:71], v[70:71], v[76:77]
	v_fma_f64 v[74:75], v[72:73], v[74:75], v[70:71]
	ds_read_b128 v[70:73], v53 offset:1024
	v_lshrrev_b32_e32 v53, 6, v49
	v_and_b32_e32 v53, 0x1f0, v53
	v_add_nc_u32_e32 v53, s0, v53
	s_waitcnt lgkmcnt(0)
	v_mul_f64 v[76:77], v[74:75], v[72:73]
	v_fma_f64 v[76:77], v[70:71], v[41:42], -v[76:77]
	v_mul_f64 v[41:42], v[41:42], v[72:73]
	v_fma_f64 v[70:71], v[70:71], v[74:75], v[41:42]
	v_mul_f64 v[41:42], v[43:44], v[70:71]
	v_fma_f64 v[41:42], v[37:38], v[76:77], v[41:42]
	v_mul_f64 v[37:38], v[37:38], v[70:71]
	v_fma_f64 v[43:44], v[43:44], v[76:77], -v[37:38]
	v_and_b32_e32 v37, 31, v49
	v_lshl_add_u32 v37, v37, 4, 0
	ds_read_b128 v[70:73], v37 offset:16128
	v_lshrrev_b32_e32 v37, 1, v49
	v_add_nc_u32_e32 v49, v49, v51
	v_and_b32_e32 v37, 0x1f0, v37
	v_add_nc_u32_e32 v37, s0, v37
	ds_read_b128 v[74:77], v37 offset:512
	s_waitcnt lgkmcnt(0)
	v_mul_f64 v[37:38], v[72:73], v[76:77]
	v_fma_f64 v[37:38], v[70:71], v[74:75], -v[37:38]
	v_mul_f64 v[70:71], v[70:71], v[76:77]
	v_fma_f64 v[74:75], v[72:73], v[74:75], v[70:71]
	ds_read_b128 v[70:73], v53 offset:1024
	s_waitcnt lgkmcnt(0)
	v_mul_f64 v[76:77], v[74:75], v[72:73]
	v_fma_f64 v[76:77], v[70:71], v[37:38], -v[76:77]
	v_mul_f64 v[37:38], v[37:38], v[72:73]
	v_fma_f64 v[70:71], v[70:71], v[74:75], v[37:38]
	v_mul_f64 v[37:38], v[45:46], v[70:71]
	v_fma_f64 v[37:38], v[39:40], v[76:77], v[37:38]
	v_mul_f64 v[39:40], v[39:40], v[70:71]
	v_fma_f64 v[39:40], v[45:46], v[76:77], -v[39:40]
	v_and_b32_e32 v45, 31, v49
	v_lshl_add_u32 v45, v45, 4, 0
	ds_read_b128 v[70:73], v45 offset:16128
	v_lshrrev_b32_e32 v45, 1, v49
	v_lshrrev_b32_e32 v49, 6, v49
	v_and_b32_e32 v45, 0x1f0, v45
	v_and_b32_e32 v49, 0x1f0, v49
	v_add_nc_u32_e32 v45, s0, v45
	v_add_nc_u32_e32 v49, s0, v49
	v_cmp_lt_u32_e64 s0, 0x3ef, v0
	ds_read_b128 v[74:77], v45 offset:512
	v_cndmask_b32_e64 v0, 0, 0xa8, s0
	s_lshl_b32 s0, s1, 4
	v_add_nc_u32_e32 v0, v0, v60
	v_mul_lo_u32 v51, s2, v0
	v_add_nc_u32_e32 v0, 0x54, v0
	v_mul_lo_u32 v0, s2, v0
	s_waitcnt lgkmcnt(0)
	v_mul_f64 v[45:46], v[72:73], v[76:77]
	v_fma_f64 v[45:46], v[70:71], v[74:75], -v[45:46]
	v_mul_f64 v[70:71], v[70:71], v[76:77]
	v_fma_f64 v[74:75], v[72:73], v[74:75], v[70:71]
	ds_read_b128 v[70:73], v49 offset:1024
	v_mul_lo_u32 v49, s8, v69
	v_add_lshl_u32 v51, v49, v51, 4
	v_add_lshl_u32 v0, v49, v0, 4
	v_cndmask_b32_e32 v51, -1, v51, vcc_lo
	v_cndmask_b32_e32 v0, -1, v0, vcc_lo
	buffer_store_dwordx4 v[1:4], v51, s[4:7], s0 offen
	buffer_store_dwordx4 v[5:8], v0, s[4:7], s0 offen
	v_sub_nc_u32_e32 v0, v66, v58
	s_waitcnt lgkmcnt(0)
	v_mul_f64 v[76:77], v[74:75], v[72:73]
	v_add_nc_u32_e32 v0, v0, v66
	v_mul_lo_u32 v1, s2, v0
	v_add_nc_u32_e32 v0, 0x54, v0
	v_mul_lo_u32 v0, s2, v0
	v_add_lshl_u32 v1, v49, v1, 4
	v_cndmask_b32_e32 v1, -1, v1, vcc_lo
	v_add_lshl_u32 v0, v49, v0, 4
	v_fma_f64 v[76:77], v[70:71], v[45:46], -v[76:77]
	v_mul_f64 v[45:46], v[45:46], v[72:73]
	buffer_store_dwordx4 v[9:12], v1, s[4:7], s0 offen
	v_cndmask_b32_e32 v0, -1, v0, vcc_lo
	buffer_store_dwordx4 v[13:16], v0, s[4:7], s0 offen
	v_sub_nc_u32_e32 v0, v68, v56
	v_add_nc_u32_e32 v0, v0, v68
	v_mul_lo_u32 v1, s2, v0
	v_add_nc_u32_e32 v0, 0x54, v0
	v_fma_f64 v[70:71], v[70:71], v[74:75], v[45:46]
	v_mul_lo_u32 v0, s2, v0
	v_add_lshl_u32 v1, v49, v1, 4
	v_cndmask_b32_e32 v1, -1, v1, vcc_lo
	v_add_lshl_u32 v0, v49, v0, 4
	buffer_store_dwordx4 v[17:20], v1, s[4:7], s0 offen
	v_cndmask_b32_e32 v0, -1, v0, vcc_lo
	buffer_store_dwordx4 v[21:24], v0, s[4:7], s0 offen
	v_sub_nc_u32_e32 v0, v65, v54
	v_mul_f64 v[45:46], v[61:62], v[70:71]
	v_add_nc_u32_e32 v0, v0, v65
	v_mul_lo_u32 v1, s2, v0
	v_add_nc_u32_e32 v0, 0x54, v0
	v_mul_lo_u32 v0, s2, v0
	v_add_lshl_u32 v1, v49, v1, 4
	v_cndmask_b32_e32 v1, -1, v1, vcc_lo
	v_add_lshl_u32 v0, v49, v0, 4
	v_fma_f64 v[45:46], v[47:48], v[76:77], v[45:46]
	v_mul_f64 v[47:48], v[47:48], v[70:71]
	buffer_store_dwordx4 v[25:28], v1, s[4:7], s0 offen
	v_cndmask_b32_e32 v0, -1, v0, vcc_lo
	buffer_store_dwordx4 v[29:32], v0, s[4:7], s0 offen
	v_sub_nc_u32_e32 v0, v64, v52
	v_add_nc_u32_e32 v0, v0, v64
	v_mul_lo_u32 v1, s2, v0
	v_add_nc_u32_e32 v0, 0x54, v0
	v_fma_f64 v[47:48], v[61:62], v[76:77], -v[47:48]
	v_mul_lo_u32 v0, s2, v0
	v_add_lshl_u32 v1, v49, v1, 4
	v_cndmask_b32_e32 v1, -1, v1, vcc_lo
	v_add_lshl_u32 v0, v49, v0, 4
	buffer_store_dwordx4 v[33:36], v1, s[4:7], s0 offen
	v_cndmask_b32_e32 v0, -1, v0, vcc_lo
	buffer_store_dwordx4 v[41:44], v0, s[4:7], s0 offen
	v_sub_nc_u32_e32 v0, v67, v50
	v_add_nc_u32_e32 v0, v0, v67
	v_mul_lo_u32 v1, s2, v0
	v_add_nc_u32_e32 v0, 0x54, v0
	v_mul_lo_u32 v0, s2, v0
	v_add_lshl_u32 v1, v49, v1, 4
	v_cndmask_b32_e32 v1, -1, v1, vcc_lo
	v_add_lshl_u32 v0, v49, v0, 4
	buffer_store_dwordx4 v[37:40], v1, s[4:7], s0 offen
	v_cndmask_b32_e32 v0, -1, v0, vcc_lo
	buffer_store_dwordx4 v[45:48], v0, s[4:7], s0 offen
	s_endpgm
	.section	.rodata,"a",@progbits
	.p2align	6, 0x0
	.amdhsa_kernel fft_rtc_back_len168_factors_2_7_6_2_wgs_168_tpt_14_halfLds_dim2_dp_op_CI_CI_sbcc_twdbase5_3step_dirReg_intrinsicReadWrite
		.amdhsa_group_segment_fixed_size 0
		.amdhsa_private_segment_fixed_size 0
		.amdhsa_kernarg_size 104
		.amdhsa_user_sgpr_count 6
		.amdhsa_user_sgpr_private_segment_buffer 1
		.amdhsa_user_sgpr_dispatch_ptr 0
		.amdhsa_user_sgpr_queue_ptr 0
		.amdhsa_user_sgpr_kernarg_segment_ptr 1
		.amdhsa_user_sgpr_dispatch_id 0
		.amdhsa_user_sgpr_flat_scratch_init 0
		.amdhsa_user_sgpr_private_segment_size 0
		.amdhsa_wavefront_size32 1
		.amdhsa_uses_dynamic_stack 0
		.amdhsa_system_sgpr_private_segment_wavefront_offset 0
		.amdhsa_system_sgpr_workgroup_id_x 1
		.amdhsa_system_sgpr_workgroup_id_y 0
		.amdhsa_system_sgpr_workgroup_id_z 0
		.amdhsa_system_sgpr_workgroup_info 0
		.amdhsa_system_vgpr_workitem_id 0
		.amdhsa_next_free_vgpr 92
		.amdhsa_next_free_sgpr 36
		.amdhsa_reserve_vcc 1
		.amdhsa_reserve_flat_scratch 0
		.amdhsa_float_round_mode_32 0
		.amdhsa_float_round_mode_16_64 0
		.amdhsa_float_denorm_mode_32 3
		.amdhsa_float_denorm_mode_16_64 3
		.amdhsa_dx10_clamp 1
		.amdhsa_ieee_mode 1
		.amdhsa_fp16_overflow 0
		.amdhsa_workgroup_processor_mode 1
		.amdhsa_memory_ordered 1
		.amdhsa_forward_progress 0
		.amdhsa_shared_vgpr_count 0
		.amdhsa_exception_fp_ieee_invalid_op 0
		.amdhsa_exception_fp_denorm_src 0
		.amdhsa_exception_fp_ieee_div_zero 0
		.amdhsa_exception_fp_ieee_overflow 0
		.amdhsa_exception_fp_ieee_underflow 0
		.amdhsa_exception_fp_ieee_inexact 0
		.amdhsa_exception_int_div_zero 0
	.end_amdhsa_kernel
	.text
.Lfunc_end0:
	.size	fft_rtc_back_len168_factors_2_7_6_2_wgs_168_tpt_14_halfLds_dim2_dp_op_CI_CI_sbcc_twdbase5_3step_dirReg_intrinsicReadWrite, .Lfunc_end0-fft_rtc_back_len168_factors_2_7_6_2_wgs_168_tpt_14_halfLds_dim2_dp_op_CI_CI_sbcc_twdbase5_3step_dirReg_intrinsicReadWrite
                                        ; -- End function
	.section	.AMDGPU.csdata,"",@progbits
; Kernel info:
; codeLenInByte = 9668
; NumSgprs: 38
; NumVgprs: 92
; ScratchSize: 0
; MemoryBound: 0
; FloatMode: 240
; IeeeMode: 1
; LDSByteSize: 0 bytes/workgroup (compile time only)
; SGPRBlocks: 4
; VGPRBlocks: 11
; NumSGPRsForWavesPerEU: 38
; NumVGPRsForWavesPerEU: 92
; Occupancy: 10
; WaveLimiterHint : 0
; COMPUTE_PGM_RSRC2:SCRATCH_EN: 0
; COMPUTE_PGM_RSRC2:USER_SGPR: 6
; COMPUTE_PGM_RSRC2:TRAP_HANDLER: 0
; COMPUTE_PGM_RSRC2:TGID_X_EN: 1
; COMPUTE_PGM_RSRC2:TGID_Y_EN: 0
; COMPUTE_PGM_RSRC2:TGID_Z_EN: 0
; COMPUTE_PGM_RSRC2:TIDIG_COMP_CNT: 0
	.text
	.p2alignl 6, 3214868480
	.fill 48, 4, 3214868480
	.type	__hip_cuid_331e3de3a5d0712,@object ; @__hip_cuid_331e3de3a5d0712
	.section	.bss,"aw",@nobits
	.globl	__hip_cuid_331e3de3a5d0712
__hip_cuid_331e3de3a5d0712:
	.byte	0                               ; 0x0
	.size	__hip_cuid_331e3de3a5d0712, 1

	.ident	"AMD clang version 19.0.0git (https://github.com/RadeonOpenCompute/llvm-project roc-6.4.0 25133 c7fe45cf4b819c5991fe208aaa96edf142730f1d)"
	.section	".note.GNU-stack","",@progbits
	.addrsig
	.addrsig_sym __hip_cuid_331e3de3a5d0712
	.amdgpu_metadata
---
amdhsa.kernels:
  - .args:
      - .actual_access:  read_only
        .address_space:  global
        .offset:         0
        .size:           8
        .value_kind:     global_buffer
      - .address_space:  global
        .offset:         8
        .size:           8
        .value_kind:     global_buffer
      - .actual_access:  read_only
        .address_space:  global
        .offset:         16
        .size:           8
        .value_kind:     global_buffer
      - .actual_access:  read_only
        .address_space:  global
        .offset:         24
        .size:           8
        .value_kind:     global_buffer
      - .actual_access:  read_only
        .address_space:  global
        .offset:         32
        .size:           8
        .value_kind:     global_buffer
      - .offset:         40
        .size:           8
        .value_kind:     by_value
      - .actual_access:  read_only
        .address_space:  global
        .offset:         48
        .size:           8
        .value_kind:     global_buffer
      - .actual_access:  read_only
        .address_space:  global
        .offset:         56
        .size:           8
        .value_kind:     global_buffer
      - .offset:         64
        .size:           4
        .value_kind:     by_value
      - .actual_access:  read_only
        .address_space:  global
        .offset:         72
        .size:           8
        .value_kind:     global_buffer
      - .actual_access:  read_only
        .address_space:  global
        .offset:         80
        .size:           8
        .value_kind:     global_buffer
      - .address_space:  global
        .offset:         88
        .size:           8
        .value_kind:     global_buffer
      - .address_space:  global
        .offset:         96
        .size:           8
        .value_kind:     global_buffer
    .group_segment_fixed_size: 0
    .kernarg_segment_align: 8
    .kernarg_segment_size: 104
    .language:       OpenCL C
    .language_version:
      - 2
      - 0
    .max_flat_workgroup_size: 168
    .name:           fft_rtc_back_len168_factors_2_7_6_2_wgs_168_tpt_14_halfLds_dim2_dp_op_CI_CI_sbcc_twdbase5_3step_dirReg_intrinsicReadWrite
    .private_segment_fixed_size: 0
    .sgpr_count:     38
    .sgpr_spill_count: 0
    .symbol:         fft_rtc_back_len168_factors_2_7_6_2_wgs_168_tpt_14_halfLds_dim2_dp_op_CI_CI_sbcc_twdbase5_3step_dirReg_intrinsicReadWrite.kd
    .uniform_work_group_size: 1
    .uses_dynamic_stack: false
    .vgpr_count:     92
    .vgpr_spill_count: 0
    .wavefront_size: 32
    .workgroup_processor_mode: 1
amdhsa.target:   amdgcn-amd-amdhsa--gfx1030
amdhsa.version:
  - 1
  - 2
...

	.end_amdgpu_metadata
